;; amdgpu-corpus repo=zjin-lcf/HeCBench kind=compiled arch=gfx906 opt=O3
	.amdgcn_target "amdgcn-amd-amdhsa--gfx906"
	.amdhsa_code_object_version 6
	.section	.text._Z34unfold_backward_elementwise_kernelILi64ELi4EZ31unfold_backward_internal_kernelIiEvPT_PKS1_PKlllllllEUliE_EviT1_,"axG",@progbits,_Z34unfold_backward_elementwise_kernelILi64ELi4EZ31unfold_backward_internal_kernelIiEvPT_PKS1_PKlllllllEUliE_EviT1_,comdat
	.protected	_Z34unfold_backward_elementwise_kernelILi64ELi4EZ31unfold_backward_internal_kernelIiEvPT_PKS1_PKlllllllEUliE_EviT1_ ; -- Begin function _Z34unfold_backward_elementwise_kernelILi64ELi4EZ31unfold_backward_internal_kernelIiEvPT_PKS1_PKlllllllEUliE_EviT1_
	.globl	_Z34unfold_backward_elementwise_kernelILi64ELi4EZ31unfold_backward_internal_kernelIiEvPT_PKS1_PKlllllllEUliE_EviT1_
	.p2align	8
	.type	_Z34unfold_backward_elementwise_kernelILi64ELi4EZ31unfold_backward_internal_kernelIiEvPT_PKS1_PKlllllllEUliE_EviT1_,@function
_Z34unfold_backward_elementwise_kernelILi64ELi4EZ31unfold_backward_internal_kernelIiEvPT_PKS1_PKlllllllEUliE_EviT1_: ; @_Z34unfold_backward_elementwise_kernelILi64ELi4EZ31unfold_backward_internal_kernelIiEvPT_PKS1_PKlllllllEUliE_EviT1_
; %bb.0:
	s_load_dwordx16 s[8:23], s[4:5], 0x8
	s_load_dword s28, s[4:5], 0x0
	v_lshl_add_u32 v0, s6, 8, v0
	s_waitcnt lgkmcnt(0)
	s_add_u32 s2, s18, -1
	s_addc_u32 s3, s19, -1
	v_cmp_gt_i32_e32 vcc, s28, v0
	s_and_saveexec_b64 s[4:5], vcc
	s_cbranch_execnz .LBB0_4
; %bb.1:
	s_or_b64 exec, exec, s[4:5]
	v_cmp_gt_i32_e32 vcc, s28, v0
	s_and_saveexec_b64 s[4:5], vcc
	s_cbranch_execnz .LBB0_15
.LBB0_2:
	s_or_b64 exec, exec, s[4:5]
	v_cmp_gt_i32_e32 vcc, s28, v0
	s_and_saveexec_b64 s[4:5], vcc
	s_cbranch_execnz .LBB0_26
.LBB0_3:
	s_or_b64 exec, exec, s[4:5]
	v_cmp_gt_i32_e32 vcc, s28, v0
	s_and_saveexec_b64 s[0:1], vcc
	s_cbranch_execnz .LBB0_37
	s_branch .LBB0_47
.LBB0_4:
	s_load_dwordx2 s[6:7], s[12:13], 0x0
	v_mov_b32_e32 v1, s14
	v_mov_b32_e32 v2, s15
	s_mov_b64 s[18:19], 0
	s_waitcnt lgkmcnt(0)
	v_cmp_le_i64_e32 vcc, s[6:7], v[1:2]
	s_cbranch_vccnz .LBB0_8
; %bb.5:
	s_sub_u32 s0, s6, s14
	s_subb_u32 s1, s7, s15
	s_or_b64 s[18:19], s[0:1], s[16:17]
	s_mov_b32 s18, 0
	s_cmp_lg_u64 s[18:19], 0
	s_cbranch_scc0 .LBB0_52
; %bb.6:
	s_ashr_i32 s18, s17, 31
	s_add_u32 s24, s16, s18
	s_mov_b32 s19, s18
	s_addc_u32 s25, s17, s18
	s_xor_b64 s[26:27], s[24:25], s[18:19]
	v_cvt_f32_u32_e32 v1, s26
	v_cvt_f32_u32_e32 v2, s27
	s_sub_u32 s29, 0, s26
	s_subb_u32 s33, 0, s27
	v_madmk_f32 v1, v2, 0x4f800000, v1
	v_rcp_f32_e32 v1, v1
	v_mul_f32_e32 v1, 0x5f7ffffc, v1
	v_mul_f32_e32 v2, 0x2f800000, v1
	v_trunc_f32_e32 v2, v2
	v_madmk_f32 v1, v2, 0xcf800000, v1
	v_cvt_u32_f32_e32 v2, v2
	v_cvt_u32_f32_e32 v1, v1
	v_readfirstlane_b32 s34, v2
	v_readfirstlane_b32 s30, v1
	s_mul_i32 s31, s29, s34
	s_mul_hi_u32 s36, s29, s30
	s_mul_i32 s35, s33, s30
	s_add_i32 s31, s36, s31
	s_add_i32 s31, s31, s35
	s_mul_i32 s37, s29, s30
	s_mul_i32 s36, s30, s31
	s_mul_hi_u32 s38, s30, s37
	s_mul_hi_u32 s35, s30, s31
	s_add_u32 s36, s38, s36
	s_addc_u32 s35, 0, s35
	s_mul_hi_u32 s39, s34, s37
	s_mul_i32 s37, s34, s37
	s_add_u32 s36, s36, s37
	s_mul_hi_u32 s38, s34, s31
	s_addc_u32 s35, s35, s39
	s_addc_u32 s36, s38, 0
	s_mul_i32 s31, s34, s31
	s_add_u32 s31, s35, s31
	s_addc_u32 s35, 0, s36
	s_add_u32 s36, s30, s31
	s_cselect_b64 s[30:31], -1, 0
	s_cmp_lg_u64 s[30:31], 0
	s_addc_u32 s34, s34, s35
	s_mul_i32 s30, s29, s34
	s_mul_hi_u32 s31, s29, s36
	s_add_i32 s30, s31, s30
	s_mul_i32 s33, s33, s36
	s_add_i32 s30, s30, s33
	s_mul_i32 s29, s29, s36
	s_mul_hi_u32 s33, s34, s29
	s_mul_i32 s35, s34, s29
	s_mul_i32 s38, s36, s30
	s_mul_hi_u32 s29, s36, s29
	s_mul_hi_u32 s37, s36, s30
	s_add_u32 s29, s29, s38
	s_addc_u32 s37, 0, s37
	s_add_u32 s29, s29, s35
	s_mul_hi_u32 s31, s34, s30
	s_addc_u32 s29, s37, s33
	s_addc_u32 s31, s31, 0
	s_mul_i32 s30, s34, s30
	s_add_u32 s29, s29, s30
	s_addc_u32 s33, 0, s31
	s_add_u32 s29, s36, s29
	s_cselect_b64 s[30:31], -1, 0
	s_cmp_lg_u64 s[30:31], 0
	s_addc_u32 s33, s34, s33
	s_ashr_i32 s30, s1, 31
	s_add_u32 s34, s0, s30
	s_mov_b32 s31, s30
	s_addc_u32 s35, s1, s30
	s_xor_b64 s[34:35], s[34:35], s[30:31]
	s_mul_i32 s36, s34, s33
	s_mul_hi_u32 s37, s34, s29
	s_mul_hi_u32 s1, s34, s33
	s_add_u32 s36, s37, s36
	s_addc_u32 s1, 0, s1
	s_mul_hi_u32 s38, s35, s29
	s_mul_i32 s29, s35, s29
	s_add_u32 s29, s36, s29
	s_mul_hi_u32 s37, s35, s33
	s_addc_u32 s1, s1, s38
	s_addc_u32 s29, s37, 0
	s_mul_i32 s33, s35, s33
	s_add_u32 s1, s1, s33
	s_addc_u32 s29, 0, s29
	s_mul_i32 s33, s26, s29
	s_mul_hi_u32 s36, s26, s1
	s_add_i32 s33, s36, s33
	s_mul_i32 s36, s27, s1
	s_add_i32 s33, s33, s36
	s_sub_i32 s38, s35, s33
	s_mul_i32 s36, s26, s1
	s_sub_u32 s34, s34, s36
	s_cselect_b64 s[36:37], -1, 0
	s_cmp_lg_u64 s[36:37], 0
	s_subb_u32 s40, s38, s27
	s_sub_u32 s41, s34, s26
	s_cselect_b64 s[38:39], -1, 0
	s_cmp_lg_u64 s[38:39], 0
	s_subb_u32 s38, s40, 0
	s_cmp_ge_u32 s38, s27
	s_cselect_b32 s39, -1, 0
	s_cmp_ge_u32 s41, s26
	s_cselect_b32 s40, -1, 0
	s_cmp_eq_u32 s38, s27
	s_cselect_b32 s38, s40, s39
	s_add_u32 s39, s1, 1
	s_addc_u32 s40, s29, 0
	s_add_u32 s41, s1, 2
	s_addc_u32 s42, s29, 0
	s_cmp_lg_u32 s38, 0
	s_cselect_b32 s38, s41, s39
	s_cselect_b32 s39, s42, s40
	s_cmp_lg_u64 s[36:37], 0
	s_subb_u32 s33, s35, s33
	s_cmp_ge_u32 s33, s27
	s_cselect_b32 s35, -1, 0
	s_cmp_ge_u32 s34, s26
	s_cselect_b32 s26, -1, 0
	s_cmp_eq_u32 s33, s27
	s_cselect_b32 s26, s26, s35
	s_cmp_lg_u32 s26, 0
	s_cselect_b32 s27, s39, s29
	s_cselect_b32 s26, s38, s1
	s_xor_b64 s[18:19], s[30:31], s[18:19]
	s_xor_b64 s[26:27], s[26:27], s[18:19]
	s_sub_u32 s18, s26, s18
	s_subb_u32 s19, s27, s19
	s_cbranch_execnz .LBB0_8
.LBB0_7:
	v_cvt_f32_u32_e32 v1, s16
	s_sub_i32 s1, 0, s16
	s_mov_b32 s19, 0
	v_rcp_iflag_f32_e32 v1, v1
	v_mul_f32_e32 v1, 0x4f7ffffe, v1
	v_cvt_u32_f32_e32 v1, v1
	v_readfirstlane_b32 s18, v1
	s_mul_i32 s1, s1, s18
	s_mul_hi_u32 s1, s18, s1
	s_add_i32 s18, s18, s1
	s_mul_hi_u32 s1, s0, s18
	s_mul_i32 s24, s1, s16
	s_sub_i32 s0, s0, s24
	s_add_i32 s18, s1, 1
	s_sub_i32 s24, s0, s16
	s_cmp_ge_u32 s0, s16
	s_cselect_b32 s1, s18, s1
	s_cselect_b32 s0, s24, s0
	s_add_i32 s18, s1, 1
	s_cmp_ge_u32 s0, s16
	s_cselect_b32 s18, s18, s1
.LBB0_8:
	s_or_b64 s[0:1], s[6:7], s[16:17]
	s_mov_b32 s0, 0
	s_cmp_lg_u64 s[0:1], 0
	s_cbranch_scc0 .LBB0_48
; %bb.9:
	s_ashr_i32 s0, s17, 31
	s_add_u32 s24, s16, s0
	s_mov_b32 s1, s0
	s_addc_u32 s25, s17, s0
	s_xor_b64 s[26:27], s[24:25], s[0:1]
	v_cvt_f32_u32_e32 v1, s26
	v_cvt_f32_u32_e32 v2, s27
	s_sub_u32 s29, 0, s26
	s_subb_u32 s33, 0, s27
	v_madmk_f32 v1, v2, 0x4f800000, v1
	v_rcp_f32_e32 v1, v1
	v_mul_f32_e32 v1, 0x5f7ffffc, v1
	v_mul_f32_e32 v2, 0x2f800000, v1
	v_trunc_f32_e32 v2, v2
	v_madmk_f32 v1, v2, 0xcf800000, v1
	v_cvt_u32_f32_e32 v2, v2
	v_cvt_u32_f32_e32 v1, v1
	v_readfirstlane_b32 s34, v2
	v_readfirstlane_b32 s30, v1
	s_mul_i32 s31, s29, s34
	s_mul_hi_u32 s36, s29, s30
	s_mul_i32 s35, s33, s30
	s_add_i32 s31, s36, s31
	s_add_i32 s31, s31, s35
	s_mul_i32 s37, s29, s30
	s_mul_i32 s36, s30, s31
	s_mul_hi_u32 s38, s30, s37
	s_mul_hi_u32 s35, s30, s31
	s_add_u32 s36, s38, s36
	s_addc_u32 s35, 0, s35
	s_mul_hi_u32 s39, s34, s37
	s_mul_i32 s37, s34, s37
	s_add_u32 s36, s36, s37
	s_mul_hi_u32 s38, s34, s31
	s_addc_u32 s35, s35, s39
	s_addc_u32 s36, s38, 0
	s_mul_i32 s31, s34, s31
	s_add_u32 s31, s35, s31
	s_addc_u32 s35, 0, s36
	s_add_u32 s36, s30, s31
	s_cselect_b64 s[30:31], -1, 0
	s_cmp_lg_u64 s[30:31], 0
	s_addc_u32 s34, s34, s35
	s_mul_i32 s30, s29, s34
	s_mul_hi_u32 s31, s29, s36
	s_add_i32 s30, s31, s30
	s_mul_i32 s33, s33, s36
	s_add_i32 s30, s30, s33
	s_mul_i32 s29, s29, s36
	s_mul_hi_u32 s33, s34, s29
	s_mul_i32 s35, s34, s29
	s_mul_i32 s38, s36, s30
	s_mul_hi_u32 s29, s36, s29
	s_mul_hi_u32 s37, s36, s30
	s_add_u32 s29, s29, s38
	s_addc_u32 s37, 0, s37
	s_add_u32 s29, s29, s35
	s_mul_hi_u32 s31, s34, s30
	s_addc_u32 s29, s37, s33
	s_addc_u32 s31, s31, 0
	s_mul_i32 s30, s34, s30
	s_add_u32 s29, s29, s30
	s_addc_u32 s33, 0, s31
	s_add_u32 s29, s36, s29
	s_cselect_b64 s[30:31], -1, 0
	s_cmp_lg_u64 s[30:31], 0
	s_addc_u32 s33, s34, s33
	s_ashr_i32 s30, s7, 31
	s_add_u32 s34, s6, s30
	s_mov_b32 s31, s30
	s_addc_u32 s35, s7, s30
	s_xor_b64 s[34:35], s[34:35], s[30:31]
	s_mul_i32 s37, s34, s33
	s_mul_hi_u32 s38, s34, s29
	s_mul_hi_u32 s36, s34, s33
	s_add_u32 s37, s38, s37
	s_addc_u32 s36, 0, s36
	s_mul_hi_u32 s39, s35, s29
	s_mul_i32 s29, s35, s29
	s_add_u32 s29, s37, s29
	s_mul_hi_u32 s38, s35, s33
	s_addc_u32 s29, s36, s39
	s_addc_u32 s36, s38, 0
	s_mul_i32 s33, s35, s33
	s_add_u32 s29, s29, s33
	s_addc_u32 s33, 0, s36
	s_mul_i32 s36, s26, s33
	s_mul_hi_u32 s37, s26, s29
	s_add_i32 s36, s37, s36
	s_mul_i32 s37, s27, s29
	s_add_i32 s40, s36, s37
	s_sub_i32 s38, s35, s40
	s_mul_i32 s36, s26, s29
	s_sub_u32 s34, s34, s36
	s_cselect_b64 s[36:37], -1, 0
	s_cmp_lg_u64 s[36:37], 0
	s_subb_u32 s41, s38, s27
	s_sub_u32 s42, s34, s26
	s_cselect_b64 s[38:39], -1, 0
	s_cmp_lg_u64 s[38:39], 0
	s_subb_u32 s38, s41, 0
	s_cmp_ge_u32 s38, s27
	s_cselect_b32 s39, -1, 0
	s_cmp_ge_u32 s42, s26
	s_cselect_b32 s41, -1, 0
	s_cmp_eq_u32 s38, s27
	s_cselect_b32 s38, s41, s39
	s_add_u32 s39, s29, 1
	s_addc_u32 s41, s33, 0
	s_add_u32 s42, s29, 2
	s_addc_u32 s43, s33, 0
	s_cmp_lg_u32 s38, 0
	s_cselect_b32 s38, s42, s39
	s_cselect_b32 s39, s43, s41
	s_cmp_lg_u64 s[36:37], 0
	s_subb_u32 s35, s35, s40
	s_cmp_ge_u32 s35, s27
	s_cselect_b32 s36, -1, 0
	s_cmp_ge_u32 s34, s26
	s_cselect_b32 s26, -1, 0
	s_cmp_eq_u32 s35, s27
	s_cselect_b32 s26, s26, s36
	s_cmp_lg_u32 s26, 0
	s_cselect_b32 s27, s39, s33
	s_cselect_b32 s26, s38, s29
	s_xor_b64 s[0:1], s[30:31], s[0:1]
	s_xor_b64 s[26:27], s[26:27], s[0:1]
	s_sub_u32 s26, s26, s0
	s_subb_u32 s27, s27, s1
	s_cbranch_execnz .LBB0_11
.LBB0_10:
	v_cvt_f32_u32_e32 v1, s16
	s_sub_i32 s0, 0, s16
	s_mov_b32 s27, 0
	v_rcp_iflag_f32_e32 v1, v1
	v_mul_f32_e32 v1, 0x4f7ffffe, v1
	v_cvt_u32_f32_e32 v1, v1
	v_readfirstlane_b32 s1, v1
	s_mul_i32 s0, s0, s1
	s_mul_hi_u32 s0, s1, s0
	s_add_i32 s1, s1, s0
	s_mul_hi_u32 s0, s6, s1
	s_mul_i32 s24, s0, s16
	s_sub_i32 s24, s6, s24
	s_add_i32 s1, s0, 1
	s_sub_i32 s25, s24, s16
	s_cmp_ge_u32 s24, s16
	s_cselect_b32 s0, s1, s0
	s_cselect_b32 s24, s25, s24
	s_add_i32 s1, s0, 1
	s_cmp_ge_u32 s24, s16
	s_cselect_b32 s26, s1, s0
.LBB0_11:
	s_mul_i32 s0, s18, s17
	s_mul_hi_u32 s1, s18, s16
	s_add_i32 s0, s1, s0
	s_mul_i32 s1, s19, s16
	v_mov_b32_e32 v1, s6
	s_add_i32 s1, s0, s1
	s_mul_i32 s0, s18, s16
	v_mov_b32_e32 v2, s7
	v_cmp_gt_i64_e32 vcc, s[0:1], v[1:2]
	s_add_u32 s0, s0, s14
	s_addc_u32 s1, s1, s15
	v_mov_b32_e32 v2, s1
	v_mov_b32_e32 v1, s0
	v_cmp_ge_i64_e64 s[0:1], s[6:7], v[1:2]
	s_or_b64 s[0:1], vcc, s[0:1]
	v_cndmask_b32_e64 v1, 0, 1, s[0:1]
	v_readfirstlane_b32 s0, v1
	v_mov_b32_e32 v1, s2
	v_mov_b32_e32 v2, s3
	s_add_u32 s24, s18, s0
	v_cmp_lt_i64_e32 vcc, s[26:27], v[1:2]
	s_addc_u32 s25, s19, 0
	s_and_b64 s[0:1], vcc, exec
	s_cselect_b32 s18, s26, s2
	s_cselect_b32 s19, s27, s3
	v_mov_b32_e32 v1, s18
	v_mov_b32_e32 v2, s19
	v_cmp_gt_i64_e32 vcc, s[24:25], v[1:2]
	s_cbranch_vccnz .LBB0_14
; %bb.12:
	v_ashrrev_i32_e32 v1, 31, v0
	v_lshlrev_b64 v[3:4], 2, v[0:1]
	v_mov_b32_e32 v2, s9
	v_add_co_u32_e32 v1, vcc, s8, v3
	v_addc_co_u32_e32 v2, vcc, v2, v4, vcc
	global_load_dword v7, v[1:2], off
	s_add_u32 s0, s24, -1
	s_mul_i32 s26, s16, s25
	s_mul_hi_u32 s27, s16, s24
	s_addc_u32 s1, s25, -1
	s_add_i32 s26, s27, s26
	s_mul_i32 s27, s17, s24
	s_add_i32 s26, s26, s27
	s_mul_i32 s27, s16, s24
	s_sub_u32 s6, s6, s27
	s_subb_u32 s7, s7, s26
	s_mul_i32 s7, s22, s7
	s_mul_hi_u32 s26, s22, s6
	s_add_i32 s7, s26, s7
	s_mul_i32 s26, s23, s6
	s_add_i32 s7, s7, s26
	s_mul_i32 s25, s20, s25
	s_mul_hi_u32 s26, s20, s24
	s_add_i32 s25, s26, s25
	s_mul_i32 s26, s21, s24
	s_mul_i32 s6, s22, s6
	s_add_i32 s25, s25, s26
	s_mul_i32 s24, s20, s24
	s_lshl_b64 s[6:7], s[6:7], 2
	s_lshl_b64 s[24:25], s[24:25], 2
	s_add_u32 s6, s6, s24
	s_addc_u32 s7, s7, s25
	s_add_u32 s6, s10, s6
	s_mul_i32 s24, s16, s23
	s_mul_hi_u32 s25, s16, s22
	s_addc_u32 s7, s11, s7
	s_add_i32 s24, s25, s24
	s_mul_i32 s25, s17, s22
	s_add_i32 s25, s24, s25
	s_mul_i32 s24, s16, s22
	v_mov_b32_e32 v5, s7
	v_add_co_u32_e32 v3, vcc, s6, v3
	s_lshl_b64 s[6:7], s[20:21], 2
	s_lshl_b64 s[24:25], s[24:25], 2
	s_sub_u32 s6, s6, s24
	v_addc_co_u32_e32 v4, vcc, v5, v4, vcc
	s_subb_u32 s7, s7, s25
	v_mov_b32_e32 v5, s18
	v_mov_b32_e32 v8, s7
	;; [unrolled: 1-line block ×3, first 2 shown]
.LBB0_13:                               ; =>This Inner Loop Header: Depth=1
	global_load_dword v9, v[3:4], off
	s_add_u32 s0, s0, 1
	v_add_co_u32_e32 v3, vcc, s6, v3
	v_addc_co_u32_e32 v4, vcc, v4, v8, vcc
	s_addc_u32 s1, s1, 0
	v_cmp_lt_i64_e32 vcc, s[0:1], v[5:6]
	s_waitcnt vmcnt(0)
	v_add_u32_e32 v7, v9, v7
	global_store_dword v[1:2], v7, off
	s_cbranch_vccnz .LBB0_13
.LBB0_14:
	v_add_u32_e32 v0, 64, v0
	s_or_b64 exec, exec, s[4:5]
	v_cmp_gt_i32_e32 vcc, s28, v0
	s_and_saveexec_b64 s[4:5], vcc
	s_cbranch_execz .LBB0_2
.LBB0_15:
	s_load_dwordx2 s[6:7], s[12:13], 0x0
	v_mov_b32_e32 v1, s14
	v_mov_b32_e32 v2, s15
	s_mov_b64 s[18:19], 0
	s_waitcnt lgkmcnt(0)
	v_cmp_le_i64_e32 vcc, s[6:7], v[1:2]
	s_cbranch_vccnz .LBB0_19
; %bb.16:
	s_sub_u32 s0, s6, s14
	s_subb_u32 s1, s7, s15
	s_or_b64 s[18:19], s[0:1], s[16:17]
	s_mov_b32 s18, 0
	s_cmp_lg_u64 s[18:19], 0
	s_cbranch_scc0 .LBB0_53
; %bb.17:
	s_ashr_i32 s18, s17, 31
	s_add_u32 s24, s16, s18
	s_mov_b32 s19, s18
	s_addc_u32 s25, s17, s18
	s_xor_b64 s[26:27], s[24:25], s[18:19]
	v_cvt_f32_u32_e32 v1, s26
	v_cvt_f32_u32_e32 v2, s27
	s_sub_u32 s29, 0, s26
	s_subb_u32 s33, 0, s27
	v_madmk_f32 v1, v2, 0x4f800000, v1
	v_rcp_f32_e32 v1, v1
	v_mul_f32_e32 v1, 0x5f7ffffc, v1
	v_mul_f32_e32 v2, 0x2f800000, v1
	v_trunc_f32_e32 v2, v2
	v_madmk_f32 v1, v2, 0xcf800000, v1
	v_cvt_u32_f32_e32 v2, v2
	v_cvt_u32_f32_e32 v1, v1
	v_readfirstlane_b32 s34, v2
	v_readfirstlane_b32 s30, v1
	s_mul_i32 s31, s29, s34
	s_mul_hi_u32 s36, s29, s30
	s_mul_i32 s35, s33, s30
	s_add_i32 s31, s36, s31
	s_add_i32 s31, s31, s35
	s_mul_i32 s37, s29, s30
	s_mul_i32 s36, s30, s31
	s_mul_hi_u32 s38, s30, s37
	s_mul_hi_u32 s35, s30, s31
	s_add_u32 s36, s38, s36
	s_addc_u32 s35, 0, s35
	s_mul_hi_u32 s39, s34, s37
	s_mul_i32 s37, s34, s37
	s_add_u32 s36, s36, s37
	s_mul_hi_u32 s38, s34, s31
	s_addc_u32 s35, s35, s39
	s_addc_u32 s36, s38, 0
	s_mul_i32 s31, s34, s31
	s_add_u32 s31, s35, s31
	s_addc_u32 s35, 0, s36
	s_add_u32 s36, s30, s31
	s_cselect_b64 s[30:31], -1, 0
	s_cmp_lg_u64 s[30:31], 0
	s_addc_u32 s34, s34, s35
	s_mul_i32 s30, s29, s34
	s_mul_hi_u32 s31, s29, s36
	s_add_i32 s30, s31, s30
	s_mul_i32 s33, s33, s36
	s_add_i32 s30, s30, s33
	s_mul_i32 s29, s29, s36
	s_mul_hi_u32 s33, s34, s29
	s_mul_i32 s35, s34, s29
	s_mul_i32 s38, s36, s30
	s_mul_hi_u32 s29, s36, s29
	s_mul_hi_u32 s37, s36, s30
	s_add_u32 s29, s29, s38
	s_addc_u32 s37, 0, s37
	s_add_u32 s29, s29, s35
	s_mul_hi_u32 s31, s34, s30
	s_addc_u32 s29, s37, s33
	s_addc_u32 s31, s31, 0
	s_mul_i32 s30, s34, s30
	s_add_u32 s29, s29, s30
	s_addc_u32 s33, 0, s31
	s_add_u32 s29, s36, s29
	s_cselect_b64 s[30:31], -1, 0
	s_cmp_lg_u64 s[30:31], 0
	s_addc_u32 s33, s34, s33
	s_ashr_i32 s30, s1, 31
	s_add_u32 s34, s0, s30
	s_mov_b32 s31, s30
	s_addc_u32 s35, s1, s30
	s_xor_b64 s[34:35], s[34:35], s[30:31]
	s_mul_i32 s36, s34, s33
	s_mul_hi_u32 s37, s34, s29
	s_mul_hi_u32 s1, s34, s33
	s_add_u32 s36, s37, s36
	s_addc_u32 s1, 0, s1
	s_mul_hi_u32 s38, s35, s29
	s_mul_i32 s29, s35, s29
	s_add_u32 s29, s36, s29
	s_mul_hi_u32 s37, s35, s33
	s_addc_u32 s1, s1, s38
	s_addc_u32 s29, s37, 0
	s_mul_i32 s33, s35, s33
	s_add_u32 s1, s1, s33
	s_addc_u32 s29, 0, s29
	s_mul_i32 s33, s26, s29
	s_mul_hi_u32 s36, s26, s1
	s_add_i32 s33, s36, s33
	s_mul_i32 s36, s27, s1
	s_add_i32 s33, s33, s36
	s_sub_i32 s38, s35, s33
	s_mul_i32 s36, s26, s1
	s_sub_u32 s34, s34, s36
	s_cselect_b64 s[36:37], -1, 0
	s_cmp_lg_u64 s[36:37], 0
	s_subb_u32 s40, s38, s27
	s_sub_u32 s41, s34, s26
	s_cselect_b64 s[38:39], -1, 0
	s_cmp_lg_u64 s[38:39], 0
	s_subb_u32 s38, s40, 0
	s_cmp_ge_u32 s38, s27
	s_cselect_b32 s39, -1, 0
	s_cmp_ge_u32 s41, s26
	s_cselect_b32 s40, -1, 0
	s_cmp_eq_u32 s38, s27
	s_cselect_b32 s38, s40, s39
	s_add_u32 s39, s1, 1
	s_addc_u32 s40, s29, 0
	s_add_u32 s41, s1, 2
	s_addc_u32 s42, s29, 0
	s_cmp_lg_u32 s38, 0
	s_cselect_b32 s38, s41, s39
	s_cselect_b32 s39, s42, s40
	s_cmp_lg_u64 s[36:37], 0
	s_subb_u32 s33, s35, s33
	s_cmp_ge_u32 s33, s27
	s_cselect_b32 s35, -1, 0
	s_cmp_ge_u32 s34, s26
	s_cselect_b32 s26, -1, 0
	s_cmp_eq_u32 s33, s27
	s_cselect_b32 s26, s26, s35
	s_cmp_lg_u32 s26, 0
	s_cselect_b32 s27, s39, s29
	s_cselect_b32 s26, s38, s1
	s_xor_b64 s[18:19], s[30:31], s[18:19]
	s_xor_b64 s[26:27], s[26:27], s[18:19]
	s_sub_u32 s18, s26, s18
	s_subb_u32 s19, s27, s19
	s_cbranch_execnz .LBB0_19
.LBB0_18:
	v_cvt_f32_u32_e32 v1, s16
	s_sub_i32 s1, 0, s16
	s_mov_b32 s19, 0
	v_rcp_iflag_f32_e32 v1, v1
	v_mul_f32_e32 v1, 0x4f7ffffe, v1
	v_cvt_u32_f32_e32 v1, v1
	v_readfirstlane_b32 s18, v1
	s_mul_i32 s1, s1, s18
	s_mul_hi_u32 s1, s18, s1
	s_add_i32 s18, s18, s1
	s_mul_hi_u32 s1, s0, s18
	s_mul_i32 s24, s1, s16
	s_sub_i32 s0, s0, s24
	s_add_i32 s18, s1, 1
	s_sub_i32 s24, s0, s16
	s_cmp_ge_u32 s0, s16
	s_cselect_b32 s1, s18, s1
	s_cselect_b32 s0, s24, s0
	s_add_i32 s18, s1, 1
	s_cmp_ge_u32 s0, s16
	s_cselect_b32 s18, s18, s1
.LBB0_19:
	s_or_b64 s[0:1], s[6:7], s[16:17]
	s_mov_b32 s0, 0
	s_cmp_lg_u64 s[0:1], 0
	s_cbranch_scc0 .LBB0_49
; %bb.20:
	s_ashr_i32 s0, s17, 31
	s_add_u32 s24, s16, s0
	s_mov_b32 s1, s0
	s_addc_u32 s25, s17, s0
	s_xor_b64 s[26:27], s[24:25], s[0:1]
	v_cvt_f32_u32_e32 v1, s26
	v_cvt_f32_u32_e32 v2, s27
	s_sub_u32 s29, 0, s26
	s_subb_u32 s33, 0, s27
	v_madmk_f32 v1, v2, 0x4f800000, v1
	v_rcp_f32_e32 v1, v1
	v_mul_f32_e32 v1, 0x5f7ffffc, v1
	v_mul_f32_e32 v2, 0x2f800000, v1
	v_trunc_f32_e32 v2, v2
	v_madmk_f32 v1, v2, 0xcf800000, v1
	v_cvt_u32_f32_e32 v2, v2
	v_cvt_u32_f32_e32 v1, v1
	v_readfirstlane_b32 s34, v2
	v_readfirstlane_b32 s30, v1
	s_mul_i32 s31, s29, s34
	s_mul_hi_u32 s36, s29, s30
	s_mul_i32 s35, s33, s30
	s_add_i32 s31, s36, s31
	s_add_i32 s31, s31, s35
	s_mul_i32 s37, s29, s30
	s_mul_i32 s36, s30, s31
	s_mul_hi_u32 s38, s30, s37
	s_mul_hi_u32 s35, s30, s31
	s_add_u32 s36, s38, s36
	s_addc_u32 s35, 0, s35
	s_mul_hi_u32 s39, s34, s37
	s_mul_i32 s37, s34, s37
	s_add_u32 s36, s36, s37
	s_mul_hi_u32 s38, s34, s31
	s_addc_u32 s35, s35, s39
	s_addc_u32 s36, s38, 0
	s_mul_i32 s31, s34, s31
	s_add_u32 s31, s35, s31
	s_addc_u32 s35, 0, s36
	s_add_u32 s36, s30, s31
	s_cselect_b64 s[30:31], -1, 0
	s_cmp_lg_u64 s[30:31], 0
	s_addc_u32 s34, s34, s35
	s_mul_i32 s30, s29, s34
	s_mul_hi_u32 s31, s29, s36
	s_add_i32 s30, s31, s30
	s_mul_i32 s33, s33, s36
	s_add_i32 s30, s30, s33
	s_mul_i32 s29, s29, s36
	s_mul_hi_u32 s33, s34, s29
	s_mul_i32 s35, s34, s29
	s_mul_i32 s38, s36, s30
	s_mul_hi_u32 s29, s36, s29
	s_mul_hi_u32 s37, s36, s30
	s_add_u32 s29, s29, s38
	s_addc_u32 s37, 0, s37
	s_add_u32 s29, s29, s35
	s_mul_hi_u32 s31, s34, s30
	s_addc_u32 s29, s37, s33
	s_addc_u32 s31, s31, 0
	s_mul_i32 s30, s34, s30
	s_add_u32 s29, s29, s30
	s_addc_u32 s33, 0, s31
	s_add_u32 s29, s36, s29
	s_cselect_b64 s[30:31], -1, 0
	s_cmp_lg_u64 s[30:31], 0
	s_addc_u32 s33, s34, s33
	s_ashr_i32 s30, s7, 31
	s_add_u32 s34, s6, s30
	s_mov_b32 s31, s30
	s_addc_u32 s35, s7, s30
	s_xor_b64 s[34:35], s[34:35], s[30:31]
	s_mul_i32 s37, s34, s33
	s_mul_hi_u32 s38, s34, s29
	s_mul_hi_u32 s36, s34, s33
	s_add_u32 s37, s38, s37
	s_addc_u32 s36, 0, s36
	s_mul_hi_u32 s39, s35, s29
	s_mul_i32 s29, s35, s29
	s_add_u32 s29, s37, s29
	s_mul_hi_u32 s38, s35, s33
	s_addc_u32 s29, s36, s39
	s_addc_u32 s36, s38, 0
	s_mul_i32 s33, s35, s33
	s_add_u32 s29, s29, s33
	s_addc_u32 s33, 0, s36
	s_mul_i32 s36, s26, s33
	s_mul_hi_u32 s37, s26, s29
	s_add_i32 s36, s37, s36
	s_mul_i32 s37, s27, s29
	s_add_i32 s40, s36, s37
	s_sub_i32 s38, s35, s40
	s_mul_i32 s36, s26, s29
	s_sub_u32 s34, s34, s36
	s_cselect_b64 s[36:37], -1, 0
	s_cmp_lg_u64 s[36:37], 0
	s_subb_u32 s41, s38, s27
	s_sub_u32 s42, s34, s26
	s_cselect_b64 s[38:39], -1, 0
	s_cmp_lg_u64 s[38:39], 0
	s_subb_u32 s38, s41, 0
	s_cmp_ge_u32 s38, s27
	s_cselect_b32 s39, -1, 0
	s_cmp_ge_u32 s42, s26
	s_cselect_b32 s41, -1, 0
	s_cmp_eq_u32 s38, s27
	s_cselect_b32 s38, s41, s39
	s_add_u32 s39, s29, 1
	s_addc_u32 s41, s33, 0
	s_add_u32 s42, s29, 2
	s_addc_u32 s43, s33, 0
	s_cmp_lg_u32 s38, 0
	s_cselect_b32 s38, s42, s39
	s_cselect_b32 s39, s43, s41
	s_cmp_lg_u64 s[36:37], 0
	s_subb_u32 s35, s35, s40
	s_cmp_ge_u32 s35, s27
	s_cselect_b32 s36, -1, 0
	s_cmp_ge_u32 s34, s26
	s_cselect_b32 s26, -1, 0
	s_cmp_eq_u32 s35, s27
	s_cselect_b32 s26, s26, s36
	s_cmp_lg_u32 s26, 0
	s_cselect_b32 s27, s39, s33
	s_cselect_b32 s26, s38, s29
	s_xor_b64 s[0:1], s[30:31], s[0:1]
	s_xor_b64 s[26:27], s[26:27], s[0:1]
	s_sub_u32 s26, s26, s0
	s_subb_u32 s27, s27, s1
	s_cbranch_execnz .LBB0_22
.LBB0_21:
	v_cvt_f32_u32_e32 v1, s16
	s_sub_i32 s0, 0, s16
	s_mov_b32 s27, 0
	v_rcp_iflag_f32_e32 v1, v1
	v_mul_f32_e32 v1, 0x4f7ffffe, v1
	v_cvt_u32_f32_e32 v1, v1
	v_readfirstlane_b32 s1, v1
	s_mul_i32 s0, s0, s1
	s_mul_hi_u32 s0, s1, s0
	s_add_i32 s1, s1, s0
	s_mul_hi_u32 s0, s6, s1
	s_mul_i32 s24, s0, s16
	s_sub_i32 s24, s6, s24
	s_add_i32 s1, s0, 1
	s_sub_i32 s25, s24, s16
	s_cmp_ge_u32 s24, s16
	s_cselect_b32 s0, s1, s0
	s_cselect_b32 s24, s25, s24
	s_add_i32 s1, s0, 1
	s_cmp_ge_u32 s24, s16
	s_cselect_b32 s26, s1, s0
.LBB0_22:
	s_mul_i32 s0, s18, s17
	s_mul_hi_u32 s1, s18, s16
	s_add_i32 s0, s1, s0
	s_mul_i32 s1, s19, s16
	v_mov_b32_e32 v1, s6
	s_add_i32 s1, s0, s1
	s_mul_i32 s0, s18, s16
	v_mov_b32_e32 v2, s7
	v_cmp_gt_i64_e32 vcc, s[0:1], v[1:2]
	s_add_u32 s0, s0, s14
	s_addc_u32 s1, s1, s15
	v_mov_b32_e32 v2, s1
	v_mov_b32_e32 v1, s0
	v_cmp_ge_i64_e64 s[0:1], s[6:7], v[1:2]
	s_or_b64 s[0:1], vcc, s[0:1]
	v_cndmask_b32_e64 v1, 0, 1, s[0:1]
	v_readfirstlane_b32 s0, v1
	v_mov_b32_e32 v1, s2
	v_mov_b32_e32 v2, s3
	s_add_u32 s24, s18, s0
	v_cmp_lt_i64_e32 vcc, s[26:27], v[1:2]
	s_addc_u32 s25, s19, 0
	s_and_b64 s[0:1], vcc, exec
	s_cselect_b32 s18, s26, s2
	s_cselect_b32 s19, s27, s3
	v_mov_b32_e32 v1, s18
	v_mov_b32_e32 v2, s19
	v_cmp_gt_i64_e32 vcc, s[24:25], v[1:2]
	s_cbranch_vccnz .LBB0_25
; %bb.23:
	v_ashrrev_i32_e32 v1, 31, v0
	v_lshlrev_b64 v[3:4], 2, v[0:1]
	v_mov_b32_e32 v2, s9
	v_add_co_u32_e32 v1, vcc, s8, v3
	v_addc_co_u32_e32 v2, vcc, v2, v4, vcc
	global_load_dword v7, v[1:2], off
	s_add_u32 s0, s24, -1
	s_mul_i32 s26, s16, s25
	s_mul_hi_u32 s27, s16, s24
	s_addc_u32 s1, s25, -1
	s_add_i32 s26, s27, s26
	s_mul_i32 s27, s17, s24
	s_add_i32 s26, s26, s27
	s_mul_i32 s27, s16, s24
	s_sub_u32 s6, s6, s27
	s_subb_u32 s7, s7, s26
	s_mul_i32 s7, s22, s7
	s_mul_hi_u32 s26, s22, s6
	s_add_i32 s7, s26, s7
	s_mul_i32 s26, s23, s6
	s_add_i32 s7, s7, s26
	s_mul_i32 s25, s20, s25
	s_mul_hi_u32 s26, s20, s24
	s_add_i32 s25, s26, s25
	s_mul_i32 s26, s21, s24
	s_mul_i32 s6, s22, s6
	s_add_i32 s25, s25, s26
	s_mul_i32 s24, s20, s24
	s_lshl_b64 s[6:7], s[6:7], 2
	s_lshl_b64 s[24:25], s[24:25], 2
	s_add_u32 s6, s6, s24
	s_addc_u32 s7, s7, s25
	s_add_u32 s6, s10, s6
	s_mul_i32 s24, s16, s23
	s_mul_hi_u32 s25, s16, s22
	s_addc_u32 s7, s11, s7
	s_add_i32 s24, s25, s24
	s_mul_i32 s25, s17, s22
	s_add_i32 s25, s24, s25
	s_mul_i32 s24, s16, s22
	v_mov_b32_e32 v5, s7
	v_add_co_u32_e32 v3, vcc, s6, v3
	s_lshl_b64 s[6:7], s[20:21], 2
	s_lshl_b64 s[24:25], s[24:25], 2
	s_sub_u32 s6, s6, s24
	v_addc_co_u32_e32 v4, vcc, v5, v4, vcc
	s_subb_u32 s7, s7, s25
	v_mov_b32_e32 v5, s18
	v_mov_b32_e32 v8, s7
	v_mov_b32_e32 v6, s19
.LBB0_24:                               ; =>This Inner Loop Header: Depth=1
	global_load_dword v9, v[3:4], off
	s_add_u32 s0, s0, 1
	v_add_co_u32_e32 v3, vcc, s6, v3
	v_addc_co_u32_e32 v4, vcc, v4, v8, vcc
	s_addc_u32 s1, s1, 0
	v_cmp_lt_i64_e32 vcc, s[0:1], v[5:6]
	s_waitcnt vmcnt(0)
	v_add_u32_e32 v7, v9, v7
	global_store_dword v[1:2], v7, off
	s_cbranch_vccnz .LBB0_24
.LBB0_25:
	v_add_u32_e32 v0, 64, v0
	s_or_b64 exec, exec, s[4:5]
	v_cmp_gt_i32_e32 vcc, s28, v0
	s_and_saveexec_b64 s[4:5], vcc
	s_cbranch_execz .LBB0_3
.LBB0_26:
	s_load_dwordx2 s[6:7], s[12:13], 0x0
	v_mov_b32_e32 v1, s14
	v_mov_b32_e32 v2, s15
	s_mov_b64 s[18:19], 0
	s_waitcnt lgkmcnt(0)
	v_cmp_le_i64_e32 vcc, s[6:7], v[1:2]
	s_cbranch_vccnz .LBB0_30
; %bb.27:
	s_sub_u32 s0, s6, s14
	s_subb_u32 s1, s7, s15
	s_or_b64 s[18:19], s[0:1], s[16:17]
	s_mov_b32 s18, 0
	s_cmp_lg_u64 s[18:19], 0
	s_cbranch_scc0 .LBB0_54
; %bb.28:
	s_ashr_i32 s18, s17, 31
	s_add_u32 s24, s16, s18
	s_mov_b32 s19, s18
	s_addc_u32 s25, s17, s18
	s_xor_b64 s[26:27], s[24:25], s[18:19]
	v_cvt_f32_u32_e32 v1, s26
	v_cvt_f32_u32_e32 v2, s27
	s_sub_u32 s29, 0, s26
	s_subb_u32 s33, 0, s27
	v_madmk_f32 v1, v2, 0x4f800000, v1
	v_rcp_f32_e32 v1, v1
	v_mul_f32_e32 v1, 0x5f7ffffc, v1
	v_mul_f32_e32 v2, 0x2f800000, v1
	v_trunc_f32_e32 v2, v2
	v_madmk_f32 v1, v2, 0xcf800000, v1
	v_cvt_u32_f32_e32 v2, v2
	v_cvt_u32_f32_e32 v1, v1
	v_readfirstlane_b32 s34, v2
	v_readfirstlane_b32 s30, v1
	s_mul_i32 s31, s29, s34
	s_mul_hi_u32 s36, s29, s30
	s_mul_i32 s35, s33, s30
	s_add_i32 s31, s36, s31
	s_add_i32 s31, s31, s35
	s_mul_i32 s37, s29, s30
	s_mul_i32 s36, s30, s31
	s_mul_hi_u32 s38, s30, s37
	s_mul_hi_u32 s35, s30, s31
	s_add_u32 s36, s38, s36
	s_addc_u32 s35, 0, s35
	s_mul_hi_u32 s39, s34, s37
	s_mul_i32 s37, s34, s37
	s_add_u32 s36, s36, s37
	s_mul_hi_u32 s38, s34, s31
	s_addc_u32 s35, s35, s39
	s_addc_u32 s36, s38, 0
	s_mul_i32 s31, s34, s31
	s_add_u32 s31, s35, s31
	s_addc_u32 s35, 0, s36
	s_add_u32 s36, s30, s31
	s_cselect_b64 s[30:31], -1, 0
	s_cmp_lg_u64 s[30:31], 0
	s_addc_u32 s34, s34, s35
	s_mul_i32 s30, s29, s34
	s_mul_hi_u32 s31, s29, s36
	s_add_i32 s30, s31, s30
	s_mul_i32 s33, s33, s36
	s_add_i32 s30, s30, s33
	s_mul_i32 s29, s29, s36
	s_mul_hi_u32 s33, s34, s29
	s_mul_i32 s35, s34, s29
	s_mul_i32 s38, s36, s30
	s_mul_hi_u32 s29, s36, s29
	s_mul_hi_u32 s37, s36, s30
	s_add_u32 s29, s29, s38
	s_addc_u32 s37, 0, s37
	s_add_u32 s29, s29, s35
	s_mul_hi_u32 s31, s34, s30
	s_addc_u32 s29, s37, s33
	s_addc_u32 s31, s31, 0
	s_mul_i32 s30, s34, s30
	s_add_u32 s29, s29, s30
	s_addc_u32 s33, 0, s31
	s_add_u32 s29, s36, s29
	s_cselect_b64 s[30:31], -1, 0
	s_cmp_lg_u64 s[30:31], 0
	s_addc_u32 s33, s34, s33
	s_ashr_i32 s30, s1, 31
	s_add_u32 s34, s0, s30
	s_mov_b32 s31, s30
	s_addc_u32 s35, s1, s30
	s_xor_b64 s[34:35], s[34:35], s[30:31]
	s_mul_i32 s36, s34, s33
	s_mul_hi_u32 s37, s34, s29
	s_mul_hi_u32 s1, s34, s33
	s_add_u32 s36, s37, s36
	s_addc_u32 s1, 0, s1
	s_mul_hi_u32 s38, s35, s29
	s_mul_i32 s29, s35, s29
	s_add_u32 s29, s36, s29
	s_mul_hi_u32 s37, s35, s33
	s_addc_u32 s1, s1, s38
	s_addc_u32 s29, s37, 0
	s_mul_i32 s33, s35, s33
	s_add_u32 s1, s1, s33
	s_addc_u32 s29, 0, s29
	s_mul_i32 s33, s26, s29
	s_mul_hi_u32 s36, s26, s1
	s_add_i32 s33, s36, s33
	s_mul_i32 s36, s27, s1
	s_add_i32 s33, s33, s36
	s_sub_i32 s38, s35, s33
	s_mul_i32 s36, s26, s1
	s_sub_u32 s34, s34, s36
	s_cselect_b64 s[36:37], -1, 0
	s_cmp_lg_u64 s[36:37], 0
	s_subb_u32 s40, s38, s27
	s_sub_u32 s41, s34, s26
	s_cselect_b64 s[38:39], -1, 0
	s_cmp_lg_u64 s[38:39], 0
	s_subb_u32 s38, s40, 0
	s_cmp_ge_u32 s38, s27
	s_cselect_b32 s39, -1, 0
	s_cmp_ge_u32 s41, s26
	s_cselect_b32 s40, -1, 0
	s_cmp_eq_u32 s38, s27
	s_cselect_b32 s38, s40, s39
	s_add_u32 s39, s1, 1
	s_addc_u32 s40, s29, 0
	s_add_u32 s41, s1, 2
	s_addc_u32 s42, s29, 0
	s_cmp_lg_u32 s38, 0
	s_cselect_b32 s38, s41, s39
	s_cselect_b32 s39, s42, s40
	s_cmp_lg_u64 s[36:37], 0
	s_subb_u32 s33, s35, s33
	s_cmp_ge_u32 s33, s27
	s_cselect_b32 s35, -1, 0
	s_cmp_ge_u32 s34, s26
	s_cselect_b32 s26, -1, 0
	s_cmp_eq_u32 s33, s27
	s_cselect_b32 s26, s26, s35
	s_cmp_lg_u32 s26, 0
	s_cselect_b32 s27, s39, s29
	s_cselect_b32 s26, s38, s1
	s_xor_b64 s[18:19], s[30:31], s[18:19]
	s_xor_b64 s[26:27], s[26:27], s[18:19]
	s_sub_u32 s18, s26, s18
	s_subb_u32 s19, s27, s19
	s_cbranch_execnz .LBB0_30
.LBB0_29:
	v_cvt_f32_u32_e32 v1, s16
	s_sub_i32 s1, 0, s16
	s_mov_b32 s19, 0
	v_rcp_iflag_f32_e32 v1, v1
	v_mul_f32_e32 v1, 0x4f7ffffe, v1
	v_cvt_u32_f32_e32 v1, v1
	v_readfirstlane_b32 s18, v1
	s_mul_i32 s1, s1, s18
	s_mul_hi_u32 s1, s18, s1
	s_add_i32 s18, s18, s1
	s_mul_hi_u32 s1, s0, s18
	s_mul_i32 s24, s1, s16
	s_sub_i32 s0, s0, s24
	s_add_i32 s18, s1, 1
	s_sub_i32 s24, s0, s16
	s_cmp_ge_u32 s0, s16
	s_cselect_b32 s1, s18, s1
	s_cselect_b32 s0, s24, s0
	s_add_i32 s18, s1, 1
	s_cmp_ge_u32 s0, s16
	s_cselect_b32 s18, s18, s1
.LBB0_30:
	s_or_b64 s[0:1], s[6:7], s[16:17]
	s_mov_b32 s0, 0
	s_cmp_lg_u64 s[0:1], 0
	s_cbranch_scc0 .LBB0_50
; %bb.31:
	s_ashr_i32 s0, s17, 31
	s_add_u32 s24, s16, s0
	s_mov_b32 s1, s0
	s_addc_u32 s25, s17, s0
	s_xor_b64 s[26:27], s[24:25], s[0:1]
	v_cvt_f32_u32_e32 v1, s26
	v_cvt_f32_u32_e32 v2, s27
	s_sub_u32 s29, 0, s26
	s_subb_u32 s33, 0, s27
	v_madmk_f32 v1, v2, 0x4f800000, v1
	v_rcp_f32_e32 v1, v1
	v_mul_f32_e32 v1, 0x5f7ffffc, v1
	v_mul_f32_e32 v2, 0x2f800000, v1
	v_trunc_f32_e32 v2, v2
	v_madmk_f32 v1, v2, 0xcf800000, v1
	v_cvt_u32_f32_e32 v2, v2
	v_cvt_u32_f32_e32 v1, v1
	v_readfirstlane_b32 s34, v2
	v_readfirstlane_b32 s30, v1
	s_mul_i32 s31, s29, s34
	s_mul_hi_u32 s36, s29, s30
	s_mul_i32 s35, s33, s30
	s_add_i32 s31, s36, s31
	s_add_i32 s31, s31, s35
	s_mul_i32 s37, s29, s30
	s_mul_i32 s36, s30, s31
	s_mul_hi_u32 s38, s30, s37
	s_mul_hi_u32 s35, s30, s31
	s_add_u32 s36, s38, s36
	s_addc_u32 s35, 0, s35
	s_mul_hi_u32 s39, s34, s37
	s_mul_i32 s37, s34, s37
	s_add_u32 s36, s36, s37
	s_mul_hi_u32 s38, s34, s31
	s_addc_u32 s35, s35, s39
	s_addc_u32 s36, s38, 0
	s_mul_i32 s31, s34, s31
	s_add_u32 s31, s35, s31
	s_addc_u32 s35, 0, s36
	s_add_u32 s36, s30, s31
	s_cselect_b64 s[30:31], -1, 0
	s_cmp_lg_u64 s[30:31], 0
	s_addc_u32 s34, s34, s35
	s_mul_i32 s30, s29, s34
	s_mul_hi_u32 s31, s29, s36
	s_add_i32 s30, s31, s30
	s_mul_i32 s33, s33, s36
	s_add_i32 s30, s30, s33
	s_mul_i32 s29, s29, s36
	s_mul_hi_u32 s33, s34, s29
	s_mul_i32 s35, s34, s29
	s_mul_i32 s38, s36, s30
	s_mul_hi_u32 s29, s36, s29
	s_mul_hi_u32 s37, s36, s30
	s_add_u32 s29, s29, s38
	s_addc_u32 s37, 0, s37
	s_add_u32 s29, s29, s35
	s_mul_hi_u32 s31, s34, s30
	s_addc_u32 s29, s37, s33
	s_addc_u32 s31, s31, 0
	s_mul_i32 s30, s34, s30
	s_add_u32 s29, s29, s30
	s_addc_u32 s33, 0, s31
	s_add_u32 s29, s36, s29
	s_cselect_b64 s[30:31], -1, 0
	s_cmp_lg_u64 s[30:31], 0
	s_addc_u32 s33, s34, s33
	s_ashr_i32 s30, s7, 31
	s_add_u32 s34, s6, s30
	s_mov_b32 s31, s30
	s_addc_u32 s35, s7, s30
	s_xor_b64 s[34:35], s[34:35], s[30:31]
	s_mul_i32 s37, s34, s33
	s_mul_hi_u32 s38, s34, s29
	s_mul_hi_u32 s36, s34, s33
	s_add_u32 s37, s38, s37
	s_addc_u32 s36, 0, s36
	s_mul_hi_u32 s39, s35, s29
	s_mul_i32 s29, s35, s29
	s_add_u32 s29, s37, s29
	s_mul_hi_u32 s38, s35, s33
	s_addc_u32 s29, s36, s39
	s_addc_u32 s36, s38, 0
	s_mul_i32 s33, s35, s33
	s_add_u32 s29, s29, s33
	s_addc_u32 s33, 0, s36
	s_mul_i32 s36, s26, s33
	s_mul_hi_u32 s37, s26, s29
	s_add_i32 s36, s37, s36
	s_mul_i32 s37, s27, s29
	s_add_i32 s40, s36, s37
	s_sub_i32 s38, s35, s40
	s_mul_i32 s36, s26, s29
	s_sub_u32 s34, s34, s36
	s_cselect_b64 s[36:37], -1, 0
	s_cmp_lg_u64 s[36:37], 0
	s_subb_u32 s41, s38, s27
	s_sub_u32 s42, s34, s26
	s_cselect_b64 s[38:39], -1, 0
	s_cmp_lg_u64 s[38:39], 0
	s_subb_u32 s38, s41, 0
	s_cmp_ge_u32 s38, s27
	s_cselect_b32 s39, -1, 0
	s_cmp_ge_u32 s42, s26
	s_cselect_b32 s41, -1, 0
	s_cmp_eq_u32 s38, s27
	s_cselect_b32 s38, s41, s39
	s_add_u32 s39, s29, 1
	s_addc_u32 s41, s33, 0
	s_add_u32 s42, s29, 2
	s_addc_u32 s43, s33, 0
	s_cmp_lg_u32 s38, 0
	s_cselect_b32 s38, s42, s39
	s_cselect_b32 s39, s43, s41
	s_cmp_lg_u64 s[36:37], 0
	s_subb_u32 s35, s35, s40
	s_cmp_ge_u32 s35, s27
	s_cselect_b32 s36, -1, 0
	s_cmp_ge_u32 s34, s26
	s_cselect_b32 s26, -1, 0
	s_cmp_eq_u32 s35, s27
	s_cselect_b32 s26, s26, s36
	s_cmp_lg_u32 s26, 0
	s_cselect_b32 s27, s39, s33
	s_cselect_b32 s26, s38, s29
	s_xor_b64 s[0:1], s[30:31], s[0:1]
	s_xor_b64 s[26:27], s[26:27], s[0:1]
	s_sub_u32 s26, s26, s0
	s_subb_u32 s27, s27, s1
	s_cbranch_execnz .LBB0_33
.LBB0_32:
	v_cvt_f32_u32_e32 v1, s16
	s_sub_i32 s0, 0, s16
	s_mov_b32 s27, 0
	v_rcp_iflag_f32_e32 v1, v1
	v_mul_f32_e32 v1, 0x4f7ffffe, v1
	v_cvt_u32_f32_e32 v1, v1
	v_readfirstlane_b32 s1, v1
	s_mul_i32 s0, s0, s1
	s_mul_hi_u32 s0, s1, s0
	s_add_i32 s1, s1, s0
	s_mul_hi_u32 s0, s6, s1
	s_mul_i32 s24, s0, s16
	s_sub_i32 s24, s6, s24
	s_add_i32 s1, s0, 1
	s_sub_i32 s25, s24, s16
	s_cmp_ge_u32 s24, s16
	s_cselect_b32 s0, s1, s0
	s_cselect_b32 s24, s25, s24
	s_add_i32 s1, s0, 1
	s_cmp_ge_u32 s24, s16
	s_cselect_b32 s26, s1, s0
.LBB0_33:
	s_mul_i32 s0, s18, s17
	s_mul_hi_u32 s1, s18, s16
	s_add_i32 s0, s1, s0
	s_mul_i32 s1, s19, s16
	v_mov_b32_e32 v1, s6
	s_add_i32 s1, s0, s1
	s_mul_i32 s0, s18, s16
	v_mov_b32_e32 v2, s7
	v_cmp_gt_i64_e32 vcc, s[0:1], v[1:2]
	s_add_u32 s0, s0, s14
	s_addc_u32 s1, s1, s15
	v_mov_b32_e32 v2, s1
	v_mov_b32_e32 v1, s0
	v_cmp_ge_i64_e64 s[0:1], s[6:7], v[1:2]
	s_or_b64 s[0:1], vcc, s[0:1]
	v_cndmask_b32_e64 v1, 0, 1, s[0:1]
	v_readfirstlane_b32 s0, v1
	v_mov_b32_e32 v1, s2
	v_mov_b32_e32 v2, s3
	s_add_u32 s24, s18, s0
	v_cmp_lt_i64_e32 vcc, s[26:27], v[1:2]
	s_addc_u32 s25, s19, 0
	s_and_b64 s[0:1], vcc, exec
	s_cselect_b32 s18, s26, s2
	s_cselect_b32 s19, s27, s3
	v_mov_b32_e32 v1, s18
	v_mov_b32_e32 v2, s19
	v_cmp_gt_i64_e32 vcc, s[24:25], v[1:2]
	s_cbranch_vccnz .LBB0_36
; %bb.34:
	v_ashrrev_i32_e32 v1, 31, v0
	v_lshlrev_b64 v[3:4], 2, v[0:1]
	v_mov_b32_e32 v2, s9
	v_add_co_u32_e32 v1, vcc, s8, v3
	v_addc_co_u32_e32 v2, vcc, v2, v4, vcc
	global_load_dword v7, v[1:2], off
	s_add_u32 s0, s24, -1
	s_mul_i32 s26, s16, s25
	s_mul_hi_u32 s27, s16, s24
	s_addc_u32 s1, s25, -1
	s_add_i32 s26, s27, s26
	s_mul_i32 s27, s17, s24
	s_add_i32 s26, s26, s27
	s_mul_i32 s27, s16, s24
	s_sub_u32 s6, s6, s27
	s_subb_u32 s7, s7, s26
	s_mul_i32 s7, s22, s7
	s_mul_hi_u32 s26, s22, s6
	s_add_i32 s7, s26, s7
	s_mul_i32 s26, s23, s6
	s_add_i32 s7, s7, s26
	s_mul_i32 s25, s20, s25
	s_mul_hi_u32 s26, s20, s24
	s_add_i32 s25, s26, s25
	s_mul_i32 s26, s21, s24
	s_mul_i32 s6, s22, s6
	s_add_i32 s25, s25, s26
	s_mul_i32 s24, s20, s24
	s_lshl_b64 s[6:7], s[6:7], 2
	s_lshl_b64 s[24:25], s[24:25], 2
	s_add_u32 s6, s6, s24
	s_addc_u32 s7, s7, s25
	s_add_u32 s6, s10, s6
	s_mul_i32 s24, s16, s23
	s_mul_hi_u32 s25, s16, s22
	s_addc_u32 s7, s11, s7
	s_add_i32 s24, s25, s24
	s_mul_i32 s25, s17, s22
	s_add_i32 s25, s24, s25
	s_mul_i32 s24, s16, s22
	v_mov_b32_e32 v5, s7
	v_add_co_u32_e32 v3, vcc, s6, v3
	s_lshl_b64 s[6:7], s[20:21], 2
	s_lshl_b64 s[24:25], s[24:25], 2
	s_sub_u32 s6, s6, s24
	v_addc_co_u32_e32 v4, vcc, v5, v4, vcc
	s_subb_u32 s7, s7, s25
	v_mov_b32_e32 v5, s18
	v_mov_b32_e32 v8, s7
	;; [unrolled: 1-line block ×3, first 2 shown]
.LBB0_35:                               ; =>This Inner Loop Header: Depth=1
	global_load_dword v9, v[3:4], off
	s_add_u32 s0, s0, 1
	v_add_co_u32_e32 v3, vcc, s6, v3
	v_addc_co_u32_e32 v4, vcc, v4, v8, vcc
	s_addc_u32 s1, s1, 0
	v_cmp_lt_i64_e32 vcc, s[0:1], v[5:6]
	s_waitcnt vmcnt(0)
	v_add_u32_e32 v7, v9, v7
	global_store_dword v[1:2], v7, off
	s_cbranch_vccnz .LBB0_35
.LBB0_36:
	v_add_u32_e32 v0, 64, v0
	s_or_b64 exec, exec, s[4:5]
	v_cmp_gt_i32_e32 vcc, s28, v0
	s_and_saveexec_b64 s[0:1], vcc
	s_cbranch_execz .LBB0_47
.LBB0_37:
	s_load_dwordx2 s[4:5], s[12:13], 0x0
	v_mov_b32_e32 v1, s14
	v_mov_b32_e32 v2, s15
	s_mov_b64 s[6:7], 0
	s_waitcnt lgkmcnt(0)
	v_cmp_le_i64_e32 vcc, s[4:5], v[1:2]
	s_cbranch_vccnz .LBB0_41
; %bb.38:
	s_sub_u32 s0, s4, s14
	s_subb_u32 s1, s5, s15
	s_or_b64 s[6:7], s[0:1], s[16:17]
	s_mov_b32 s6, 0
	s_cmp_lg_u64 s[6:7], 0
	s_cbranch_scc0 .LBB0_55
; %bb.39:
	s_ashr_i32 s6, s17, 31
	s_add_u32 s12, s16, s6
	s_mov_b32 s7, s6
	s_addc_u32 s13, s17, s6
	s_xor_b64 s[18:19], s[12:13], s[6:7]
	v_cvt_f32_u32_e32 v1, s18
	v_cvt_f32_u32_e32 v2, s19
	s_sub_u32 s26, 0, s18
	s_subb_u32 s27, 0, s19
	v_madmk_f32 v1, v2, 0x4f800000, v1
	v_rcp_f32_e32 v1, v1
	v_mul_f32_e32 v1, 0x5f7ffffc, v1
	v_mul_f32_e32 v2, 0x2f800000, v1
	v_trunc_f32_e32 v2, v2
	v_madmk_f32 v1, v2, 0xcf800000, v1
	v_cvt_u32_f32_e32 v2, v2
	v_cvt_u32_f32_e32 v1, v1
	v_readfirstlane_b32 s28, v2
	v_readfirstlane_b32 s24, v1
	s_mul_i32 s25, s26, s28
	s_mul_hi_u32 s30, s26, s24
	s_mul_i32 s29, s27, s24
	s_add_i32 s25, s30, s25
	s_add_i32 s25, s25, s29
	s_mul_i32 s31, s26, s24
	s_mul_i32 s30, s24, s25
	s_mul_hi_u32 s33, s24, s31
	s_mul_hi_u32 s29, s24, s25
	s_add_u32 s30, s33, s30
	s_addc_u32 s29, 0, s29
	s_mul_hi_u32 s34, s28, s31
	s_mul_i32 s31, s28, s31
	s_add_u32 s30, s30, s31
	s_mul_hi_u32 s33, s28, s25
	s_addc_u32 s29, s29, s34
	s_addc_u32 s30, s33, 0
	s_mul_i32 s25, s28, s25
	s_add_u32 s25, s29, s25
	s_addc_u32 s29, 0, s30
	s_add_u32 s30, s24, s25
	s_cselect_b64 s[24:25], -1, 0
	s_cmp_lg_u64 s[24:25], 0
	s_addc_u32 s28, s28, s29
	s_mul_i32 s24, s26, s28
	s_mul_hi_u32 s25, s26, s30
	s_add_i32 s24, s25, s24
	s_mul_i32 s27, s27, s30
	s_add_i32 s24, s24, s27
	s_mul_i32 s26, s26, s30
	s_mul_hi_u32 s27, s28, s26
	s_mul_i32 s29, s28, s26
	s_mul_i32 s33, s30, s24
	s_mul_hi_u32 s26, s30, s26
	s_mul_hi_u32 s31, s30, s24
	s_add_u32 s26, s26, s33
	s_addc_u32 s31, 0, s31
	s_add_u32 s26, s26, s29
	s_mul_hi_u32 s25, s28, s24
	s_addc_u32 s26, s31, s27
	s_addc_u32 s25, s25, 0
	s_mul_i32 s24, s28, s24
	s_add_u32 s24, s26, s24
	s_addc_u32 s26, 0, s25
	s_add_u32 s29, s30, s24
	s_cselect_b64 s[24:25], -1, 0
	s_cmp_lg_u64 s[24:25], 0
	s_addc_u32 s28, s28, s26
	s_ashr_i32 s24, s1, 31
	s_add_u32 s26, s0, s24
	s_mov_b32 s25, s24
	s_addc_u32 s27, s1, s24
	s_xor_b64 s[26:27], s[26:27], s[24:25]
	s_mul_i32 s30, s26, s28
	s_mul_hi_u32 s31, s26, s29
	s_mul_hi_u32 s1, s26, s28
	s_add_u32 s30, s31, s30
	s_addc_u32 s1, 0, s1
	s_mul_hi_u32 s33, s27, s29
	s_mul_i32 s29, s27, s29
	s_add_u32 s29, s30, s29
	s_mul_hi_u32 s31, s27, s28
	s_addc_u32 s1, s1, s33
	s_addc_u32 s29, s31, 0
	s_mul_i32 s28, s27, s28
	s_add_u32 s1, s1, s28
	s_addc_u32 s33, 0, s29
	s_mul_i32 s28, s18, s33
	s_mul_hi_u32 s29, s18, s1
	s_add_i32 s28, s29, s28
	s_mul_i32 s29, s19, s1
	s_add_i32 s34, s28, s29
	s_sub_i32 s30, s27, s34
	s_mul_i32 s28, s18, s1
	s_sub_u32 s26, s26, s28
	s_cselect_b64 s[28:29], -1, 0
	s_cmp_lg_u64 s[28:29], 0
	s_subb_u32 s35, s30, s19
	s_sub_u32 s36, s26, s18
	s_cselect_b64 s[30:31], -1, 0
	s_cmp_lg_u64 s[30:31], 0
	s_subb_u32 s30, s35, 0
	s_cmp_ge_u32 s30, s19
	s_cselect_b32 s31, -1, 0
	s_cmp_ge_u32 s36, s18
	s_cselect_b32 s35, -1, 0
	s_cmp_eq_u32 s30, s19
	s_cselect_b32 s30, s35, s31
	s_add_u32 s31, s1, 1
	s_addc_u32 s35, s33, 0
	s_add_u32 s36, s1, 2
	s_addc_u32 s37, s33, 0
	s_cmp_lg_u32 s30, 0
	s_cselect_b32 s30, s36, s31
	s_cselect_b32 s31, s37, s35
	s_cmp_lg_u64 s[28:29], 0
	s_subb_u32 s27, s27, s34
	s_cmp_ge_u32 s27, s19
	s_cselect_b32 s28, -1, 0
	s_cmp_ge_u32 s26, s18
	s_cselect_b32 s18, -1, 0
	s_cmp_eq_u32 s27, s19
	s_cselect_b32 s18, s18, s28
	s_cmp_lg_u32 s18, 0
	s_cselect_b32 s19, s31, s33
	s_cselect_b32 s18, s30, s1
	s_xor_b64 s[6:7], s[24:25], s[6:7]
	s_xor_b64 s[18:19], s[18:19], s[6:7]
	s_sub_u32 s6, s18, s6
	s_subb_u32 s7, s19, s7
	s_cbranch_execnz .LBB0_41
.LBB0_40:
	v_cvt_f32_u32_e32 v1, s16
	s_sub_i32 s1, 0, s16
	s_mov_b32 s7, 0
	v_rcp_iflag_f32_e32 v1, v1
	v_mul_f32_e32 v1, 0x4f7ffffe, v1
	v_cvt_u32_f32_e32 v1, v1
	v_readfirstlane_b32 s6, v1
	s_mul_i32 s1, s1, s6
	s_mul_hi_u32 s1, s6, s1
	s_add_i32 s6, s6, s1
	s_mul_hi_u32 s1, s0, s6
	s_mul_i32 s12, s1, s16
	s_sub_i32 s0, s0, s12
	s_add_i32 s6, s1, 1
	s_sub_i32 s12, s0, s16
	s_cmp_ge_u32 s0, s16
	s_cselect_b32 s1, s6, s1
	s_cselect_b32 s0, s12, s0
	s_add_i32 s6, s1, 1
	s_cmp_ge_u32 s0, s16
	s_cselect_b32 s6, s6, s1
.LBB0_41:
	s_or_b64 s[0:1], s[4:5], s[16:17]
	s_mov_b32 s0, 0
	s_cmp_lg_u64 s[0:1], 0
	s_cbranch_scc0 .LBB0_51
; %bb.42:
	s_ashr_i32 s0, s17, 31
	s_add_u32 s12, s16, s0
	s_mov_b32 s1, s0
	s_addc_u32 s13, s17, s0
	s_xor_b64 s[18:19], s[12:13], s[0:1]
	v_cvt_f32_u32_e32 v1, s18
	v_cvt_f32_u32_e32 v2, s19
	s_sub_u32 s26, 0, s18
	s_subb_u32 s27, 0, s19
	v_madmk_f32 v1, v2, 0x4f800000, v1
	v_rcp_f32_e32 v1, v1
	v_mul_f32_e32 v1, 0x5f7ffffc, v1
	v_mul_f32_e32 v2, 0x2f800000, v1
	v_trunc_f32_e32 v2, v2
	v_madmk_f32 v1, v2, 0xcf800000, v1
	v_cvt_u32_f32_e32 v2, v2
	v_cvt_u32_f32_e32 v1, v1
	v_readfirstlane_b32 s28, v2
	v_readfirstlane_b32 s24, v1
	s_mul_i32 s25, s26, s28
	s_mul_hi_u32 s30, s26, s24
	s_mul_i32 s29, s27, s24
	s_add_i32 s25, s30, s25
	s_add_i32 s25, s25, s29
	s_mul_i32 s31, s26, s24
	s_mul_i32 s30, s24, s25
	s_mul_hi_u32 s33, s24, s31
	s_mul_hi_u32 s29, s24, s25
	s_add_u32 s30, s33, s30
	s_addc_u32 s29, 0, s29
	s_mul_hi_u32 s34, s28, s31
	s_mul_i32 s31, s28, s31
	s_add_u32 s30, s30, s31
	s_mul_hi_u32 s33, s28, s25
	s_addc_u32 s29, s29, s34
	s_addc_u32 s30, s33, 0
	s_mul_i32 s25, s28, s25
	s_add_u32 s25, s29, s25
	s_addc_u32 s29, 0, s30
	s_add_u32 s30, s24, s25
	s_cselect_b64 s[24:25], -1, 0
	s_cmp_lg_u64 s[24:25], 0
	s_addc_u32 s28, s28, s29
	s_mul_i32 s24, s26, s28
	s_mul_hi_u32 s25, s26, s30
	s_add_i32 s24, s25, s24
	s_mul_i32 s27, s27, s30
	s_add_i32 s24, s24, s27
	s_mul_i32 s26, s26, s30
	s_mul_hi_u32 s27, s28, s26
	s_mul_i32 s29, s28, s26
	s_mul_i32 s33, s30, s24
	s_mul_hi_u32 s26, s30, s26
	s_mul_hi_u32 s31, s30, s24
	s_add_u32 s26, s26, s33
	s_addc_u32 s31, 0, s31
	s_add_u32 s26, s26, s29
	s_mul_hi_u32 s25, s28, s24
	s_addc_u32 s26, s31, s27
	s_addc_u32 s25, s25, 0
	s_mul_i32 s24, s28, s24
	s_add_u32 s24, s26, s24
	s_addc_u32 s26, 0, s25
	s_add_u32 s29, s30, s24
	s_cselect_b64 s[24:25], -1, 0
	s_cmp_lg_u64 s[24:25], 0
	s_addc_u32 s28, s28, s26
	s_ashr_i32 s24, s5, 31
	s_add_u32 s26, s4, s24
	s_mov_b32 s25, s24
	s_addc_u32 s27, s5, s24
	s_xor_b64 s[26:27], s[26:27], s[24:25]
	s_mul_i32 s31, s26, s28
	s_mul_hi_u32 s33, s26, s29
	s_mul_hi_u32 s30, s26, s28
	s_add_u32 s31, s33, s31
	s_addc_u32 s30, 0, s30
	s_mul_hi_u32 s34, s27, s29
	s_mul_i32 s29, s27, s29
	s_add_u32 s29, s31, s29
	s_mul_hi_u32 s33, s27, s28
	s_addc_u32 s29, s30, s34
	s_addc_u32 s30, s33, 0
	s_mul_i32 s28, s27, s28
	s_add_u32 s33, s29, s28
	s_addc_u32 s34, 0, s30
	s_mul_i32 s28, s18, s34
	s_mul_hi_u32 s29, s18, s33
	s_add_i32 s28, s29, s28
	s_mul_i32 s29, s19, s33
	s_add_i32 s35, s28, s29
	s_sub_i32 s30, s27, s35
	s_mul_i32 s28, s18, s33
	s_sub_u32 s26, s26, s28
	s_cselect_b64 s[28:29], -1, 0
	s_cmp_lg_u64 s[28:29], 0
	s_subb_u32 s36, s30, s19
	s_sub_u32 s37, s26, s18
	s_cselect_b64 s[30:31], -1, 0
	s_cmp_lg_u64 s[30:31], 0
	s_subb_u32 s30, s36, 0
	s_cmp_ge_u32 s30, s19
	s_cselect_b32 s31, -1, 0
	s_cmp_ge_u32 s37, s18
	s_cselect_b32 s36, -1, 0
	s_cmp_eq_u32 s30, s19
	s_cselect_b32 s30, s36, s31
	s_add_u32 s31, s33, 1
	s_addc_u32 s36, s34, 0
	s_add_u32 s37, s33, 2
	s_addc_u32 s38, s34, 0
	s_cmp_lg_u32 s30, 0
	s_cselect_b32 s30, s37, s31
	s_cselect_b32 s31, s38, s36
	s_cmp_lg_u64 s[28:29], 0
	s_subb_u32 s27, s27, s35
	s_cmp_ge_u32 s27, s19
	s_cselect_b32 s28, -1, 0
	s_cmp_ge_u32 s26, s18
	s_cselect_b32 s18, -1, 0
	s_cmp_eq_u32 s27, s19
	s_cselect_b32 s18, s18, s28
	s_cmp_lg_u32 s18, 0
	s_cselect_b32 s19, s31, s34
	s_cselect_b32 s18, s30, s33
	s_xor_b64 s[0:1], s[24:25], s[0:1]
	s_xor_b64 s[18:19], s[18:19], s[0:1]
	s_sub_u32 s18, s18, s0
	s_subb_u32 s19, s19, s1
	s_cbranch_execnz .LBB0_44
.LBB0_43:
	v_cvt_f32_u32_e32 v1, s16
	s_sub_i32 s0, 0, s16
	s_mov_b32 s19, 0
	v_rcp_iflag_f32_e32 v1, v1
	v_mul_f32_e32 v1, 0x4f7ffffe, v1
	v_cvt_u32_f32_e32 v1, v1
	v_readfirstlane_b32 s1, v1
	s_mul_i32 s0, s0, s1
	s_mul_hi_u32 s0, s1, s0
	s_add_i32 s1, s1, s0
	s_mul_hi_u32 s0, s4, s1
	s_mul_i32 s12, s0, s16
	s_sub_i32 s12, s4, s12
	s_add_i32 s1, s0, 1
	s_sub_i32 s13, s12, s16
	s_cmp_ge_u32 s12, s16
	s_cselect_b32 s0, s1, s0
	s_cselect_b32 s12, s13, s12
	s_add_i32 s1, s0, 1
	s_cmp_ge_u32 s12, s16
	s_cselect_b32 s18, s1, s0
.LBB0_44:
	s_mul_i32 s0, s6, s17
	s_mul_hi_u32 s1, s6, s16
	s_add_i32 s0, s1, s0
	s_mul_i32 s1, s7, s16
	v_mov_b32_e32 v1, s4
	s_add_i32 s1, s0, s1
	s_mul_i32 s0, s6, s16
	v_mov_b32_e32 v2, s5
	v_cmp_gt_i64_e32 vcc, s[0:1], v[1:2]
	s_add_u32 s0, s0, s14
	s_addc_u32 s1, s1, s15
	v_mov_b32_e32 v2, s1
	v_mov_b32_e32 v1, s0
	v_cmp_ge_i64_e64 s[0:1], s[4:5], v[1:2]
	s_or_b64 s[0:1], vcc, s[0:1]
	v_cndmask_b32_e64 v1, 0, 1, s[0:1]
	v_readfirstlane_b32 s0, v1
	v_mov_b32_e32 v1, s2
	v_mov_b32_e32 v2, s3
	s_add_u32 s6, s6, s0
	v_cmp_lt_i64_e32 vcc, s[18:19], v[1:2]
	s_addc_u32 s7, s7, 0
	s_and_b64 s[0:1], vcc, exec
	s_cselect_b32 s2, s18, s2
	s_cselect_b32 s3, s19, s3
	v_mov_b32_e32 v1, s2
	v_mov_b32_e32 v2, s3
	v_cmp_gt_i64_e32 vcc, s[6:7], v[1:2]
	s_cbranch_vccnz .LBB0_47
; %bb.45:
	v_ashrrev_i32_e32 v1, 31, v0
	v_lshlrev_b64 v[2:3], 2, v[0:1]
	v_mov_b32_e32 v1, s9
	v_add_co_u32_e32 v0, vcc, s8, v2
	v_addc_co_u32_e32 v1, vcc, v1, v3, vcc
	global_load_dword v6, v[0:1], off
	s_add_u32 s0, s6, -1
	s_mul_i32 s8, s16, s7
	s_mul_hi_u32 s9, s16, s6
	s_addc_u32 s1, s7, -1
	s_add_i32 s8, s9, s8
	s_mul_i32 s9, s17, s6
	s_add_i32 s8, s8, s9
	s_mul_i32 s9, s16, s6
	s_sub_u32 s4, s4, s9
	s_subb_u32 s5, s5, s8
	s_mul_i32 s5, s22, s5
	s_mul_hi_u32 s8, s22, s4
	s_add_i32 s5, s8, s5
	s_mul_i32 s8, s23, s4
	s_add_i32 s5, s5, s8
	s_mul_i32 s7, s20, s7
	s_mul_hi_u32 s8, s20, s6
	s_add_i32 s7, s8, s7
	s_mul_i32 s8, s21, s6
	s_mul_i32 s4, s22, s4
	s_add_i32 s7, s7, s8
	s_mul_i32 s6, s20, s6
	s_lshl_b64 s[4:5], s[4:5], 2
	s_lshl_b64 s[6:7], s[6:7], 2
	s_add_u32 s4, s4, s6
	s_addc_u32 s5, s5, s7
	s_add_u32 s4, s10, s4
	s_mul_i32 s6, s16, s23
	s_mul_hi_u32 s7, s16, s22
	s_addc_u32 s5, s11, s5
	s_add_i32 s6, s7, s6
	s_mul_i32 s7, s17, s22
	s_add_i32 s7, s6, s7
	s_mul_i32 s6, s16, s22
	v_mov_b32_e32 v4, s5
	v_add_co_u32_e32 v2, vcc, s4, v2
	s_lshl_b64 s[4:5], s[20:21], 2
	s_lshl_b64 s[6:7], s[6:7], 2
	s_sub_u32 s4, s4, s6
	v_addc_co_u32_e32 v3, vcc, v4, v3, vcc
	s_subb_u32 s5, s5, s7
	v_mov_b32_e32 v5, s3
	v_mov_b32_e32 v7, s5
	;; [unrolled: 1-line block ×3, first 2 shown]
.LBB0_46:                               ; =>This Inner Loop Header: Depth=1
	global_load_dword v8, v[2:3], off
	s_add_u32 s0, s0, 1
	v_add_co_u32_e32 v2, vcc, s4, v2
	v_addc_co_u32_e32 v3, vcc, v3, v7, vcc
	s_addc_u32 s1, s1, 0
	v_cmp_lt_i64_e32 vcc, s[0:1], v[4:5]
	s_waitcnt vmcnt(0)
	v_add_u32_e32 v6, v8, v6
	global_store_dword v[0:1], v6, off
	s_cbranch_vccnz .LBB0_46
.LBB0_47:
	s_endpgm
.LBB0_48:
                                        ; implicit-def: $sgpr26_sgpr27
	s_branch .LBB0_10
.LBB0_49:
                                        ; implicit-def: $sgpr26_sgpr27
	s_branch .LBB0_21
.LBB0_50:
                                        ; implicit-def: $sgpr26_sgpr27
	s_branch .LBB0_32
.LBB0_51:
                                        ; implicit-def: $sgpr18_sgpr19
	s_branch .LBB0_43
.LBB0_52:
                                        ; implicit-def: $sgpr18_sgpr19
	s_branch .LBB0_7
.LBB0_53:
                                        ; implicit-def: $sgpr18_sgpr19
	s_branch .LBB0_18
.LBB0_54:
                                        ; implicit-def: $sgpr18_sgpr19
	s_branch .LBB0_29
.LBB0_55:
                                        ; implicit-def: $sgpr6_sgpr7
	s_branch .LBB0_40
	.section	.rodata,"a",@progbits
	.p2align	6, 0x0
	.amdhsa_kernel _Z34unfold_backward_elementwise_kernelILi64ELi4EZ31unfold_backward_internal_kernelIiEvPT_PKS1_PKlllllllEUliE_EviT1_
		.amdhsa_group_segment_fixed_size 0
		.amdhsa_private_segment_fixed_size 0
		.amdhsa_kernarg_size 72
		.amdhsa_user_sgpr_count 6
		.amdhsa_user_sgpr_private_segment_buffer 1
		.amdhsa_user_sgpr_dispatch_ptr 0
		.amdhsa_user_sgpr_queue_ptr 0
		.amdhsa_user_sgpr_kernarg_segment_ptr 1
		.amdhsa_user_sgpr_dispatch_id 0
		.amdhsa_user_sgpr_flat_scratch_init 0
		.amdhsa_user_sgpr_private_segment_size 0
		.amdhsa_uses_dynamic_stack 0
		.amdhsa_system_sgpr_private_segment_wavefront_offset 0
		.amdhsa_system_sgpr_workgroup_id_x 1
		.amdhsa_system_sgpr_workgroup_id_y 0
		.amdhsa_system_sgpr_workgroup_id_z 0
		.amdhsa_system_sgpr_workgroup_info 0
		.amdhsa_system_vgpr_workitem_id 0
		.amdhsa_next_free_vgpr 10
		.amdhsa_next_free_sgpr 44
		.amdhsa_reserve_vcc 1
		.amdhsa_reserve_flat_scratch 0
		.amdhsa_float_round_mode_32 0
		.amdhsa_float_round_mode_16_64 0
		.amdhsa_float_denorm_mode_32 3
		.amdhsa_float_denorm_mode_16_64 3
		.amdhsa_dx10_clamp 1
		.amdhsa_ieee_mode 1
		.amdhsa_fp16_overflow 0
		.amdhsa_exception_fp_ieee_invalid_op 0
		.amdhsa_exception_fp_denorm_src 0
		.amdhsa_exception_fp_ieee_div_zero 0
		.amdhsa_exception_fp_ieee_overflow 0
		.amdhsa_exception_fp_ieee_underflow 0
		.amdhsa_exception_fp_ieee_inexact 0
		.amdhsa_exception_int_div_zero 0
	.end_amdhsa_kernel
	.section	.text._Z34unfold_backward_elementwise_kernelILi64ELi4EZ31unfold_backward_internal_kernelIiEvPT_PKS1_PKlllllllEUliE_EviT1_,"axG",@progbits,_Z34unfold_backward_elementwise_kernelILi64ELi4EZ31unfold_backward_internal_kernelIiEvPT_PKS1_PKlllllllEUliE_EviT1_,comdat
.Lfunc_end0:
	.size	_Z34unfold_backward_elementwise_kernelILi64ELi4EZ31unfold_backward_internal_kernelIiEvPT_PKS1_PKlllllllEUliE_EviT1_, .Lfunc_end0-_Z34unfold_backward_elementwise_kernelILi64ELi4EZ31unfold_backward_internal_kernelIiEvPT_PKS1_PKlllllllEUliE_EviT1_
                                        ; -- End function
	.set _Z34unfold_backward_elementwise_kernelILi64ELi4EZ31unfold_backward_internal_kernelIiEvPT_PKS1_PKlllllllEUliE_EviT1_.num_vgpr, 10
	.set _Z34unfold_backward_elementwise_kernelILi64ELi4EZ31unfold_backward_internal_kernelIiEvPT_PKS1_PKlllllllEUliE_EviT1_.num_agpr, 0
	.set _Z34unfold_backward_elementwise_kernelILi64ELi4EZ31unfold_backward_internal_kernelIiEvPT_PKS1_PKlllllllEUliE_EviT1_.numbered_sgpr, 44
	.set _Z34unfold_backward_elementwise_kernelILi64ELi4EZ31unfold_backward_internal_kernelIiEvPT_PKS1_PKlllllllEUliE_EviT1_.num_named_barrier, 0
	.set _Z34unfold_backward_elementwise_kernelILi64ELi4EZ31unfold_backward_internal_kernelIiEvPT_PKS1_PKlllllllEUliE_EviT1_.private_seg_size, 0
	.set _Z34unfold_backward_elementwise_kernelILi64ELi4EZ31unfold_backward_internal_kernelIiEvPT_PKS1_PKlllllllEUliE_EviT1_.uses_vcc, 1
	.set _Z34unfold_backward_elementwise_kernelILi64ELi4EZ31unfold_backward_internal_kernelIiEvPT_PKS1_PKlllllllEUliE_EviT1_.uses_flat_scratch, 0
	.set _Z34unfold_backward_elementwise_kernelILi64ELi4EZ31unfold_backward_internal_kernelIiEvPT_PKS1_PKlllllllEUliE_EviT1_.has_dyn_sized_stack, 0
	.set _Z34unfold_backward_elementwise_kernelILi64ELi4EZ31unfold_backward_internal_kernelIiEvPT_PKS1_PKlllllllEUliE_EviT1_.has_recursion, 0
	.set _Z34unfold_backward_elementwise_kernelILi64ELi4EZ31unfold_backward_internal_kernelIiEvPT_PKS1_PKlllllllEUliE_EviT1_.has_indirect_call, 0
	.section	.AMDGPU.csdata,"",@progbits
; Kernel info:
; codeLenInByte = 7060
; TotalNumSgprs: 48
; NumVgprs: 10
; ScratchSize: 0
; MemoryBound: 0
; FloatMode: 240
; IeeeMode: 1
; LDSByteSize: 0 bytes/workgroup (compile time only)
; SGPRBlocks: 5
; VGPRBlocks: 2
; NumSGPRsForWavesPerEU: 48
; NumVGPRsForWavesPerEU: 10
; Occupancy: 10
; WaveLimiterHint : 0
; COMPUTE_PGM_RSRC2:SCRATCH_EN: 0
; COMPUTE_PGM_RSRC2:USER_SGPR: 6
; COMPUTE_PGM_RSRC2:TRAP_HANDLER: 0
; COMPUTE_PGM_RSRC2:TGID_X_EN: 1
; COMPUTE_PGM_RSRC2:TGID_Y_EN: 0
; COMPUTE_PGM_RSRC2:TGID_Z_EN: 0
; COMPUTE_PGM_RSRC2:TIDIG_COMP_CNT: 0
	.section	.AMDGPU.gpr_maximums,"",@progbits
	.set amdgpu.max_num_vgpr, 0
	.set amdgpu.max_num_agpr, 0
	.set amdgpu.max_num_sgpr, 0
	.section	.AMDGPU.csdata,"",@progbits
	.type	__hip_cuid_b7c0f9055d6ba33b,@object ; @__hip_cuid_b7c0f9055d6ba33b
	.section	.bss,"aw",@nobits
	.globl	__hip_cuid_b7c0f9055d6ba33b
__hip_cuid_b7c0f9055d6ba33b:
	.byte	0                               ; 0x0
	.size	__hip_cuid_b7c0f9055d6ba33b, 1

	.ident	"AMD clang version 22.0.0git (https://github.com/RadeonOpenCompute/llvm-project roc-7.2.4 26084 f58b06dce1f9c15707c5f808fd002e18c2accf7e)"
	.section	".note.GNU-stack","",@progbits
	.addrsig
	.addrsig_sym __hip_cuid_b7c0f9055d6ba33b
	.amdgpu_metadata
---
amdhsa.kernels:
  - .args:
      - .offset:         0
        .size:           4
        .value_kind:     by_value
      - .offset:         8
        .size:           64
        .value_kind:     by_value
    .group_segment_fixed_size: 0
    .kernarg_segment_align: 8
    .kernarg_segment_size: 72
    .language:       OpenCL C
    .language_version:
      - 2
      - 0
    .max_flat_workgroup_size: 1024
    .name:           _Z34unfold_backward_elementwise_kernelILi64ELi4EZ31unfold_backward_internal_kernelIiEvPT_PKS1_PKlllllllEUliE_EviT1_
    .private_segment_fixed_size: 0
    .sgpr_count:     48
    .sgpr_spill_count: 0
    .symbol:         _Z34unfold_backward_elementwise_kernelILi64ELi4EZ31unfold_backward_internal_kernelIiEvPT_PKS1_PKlllllllEUliE_EviT1_.kd
    .uniform_work_group_size: 1
    .uses_dynamic_stack: false
    .vgpr_count:     10
    .vgpr_spill_count: 0
    .wavefront_size: 64
amdhsa.target:   amdgcn-amd-amdhsa--gfx906
amdhsa.version:
  - 1
  - 2
...

	.end_amdgpu_metadata
